;; amdgpu-corpus repo=ROCm/rocFFT kind=compiled arch=gfx950 opt=O3
	.text
	.amdgcn_target "amdgcn-amd-amdhsa--gfx950"
	.amdhsa_code_object_version 6
	.protected	fft_rtc_fwd_len429_factors_13_3_11_wgs_117_tpt_39_sp_op_CI_CI_sbrr_dirReg ; -- Begin function fft_rtc_fwd_len429_factors_13_3_11_wgs_117_tpt_39_sp_op_CI_CI_sbrr_dirReg
	.globl	fft_rtc_fwd_len429_factors_13_3_11_wgs_117_tpt_39_sp_op_CI_CI_sbrr_dirReg
	.p2align	8
	.type	fft_rtc_fwd_len429_factors_13_3_11_wgs_117_tpt_39_sp_op_CI_CI_sbrr_dirReg,@function
fft_rtc_fwd_len429_factors_13_3_11_wgs_117_tpt_39_sp_op_CI_CI_sbrr_dirReg: ; @fft_rtc_fwd_len429_factors_13_3_11_wgs_117_tpt_39_sp_op_CI_CI_sbrr_dirReg
; %bb.0:
	s_load_dwordx4 s[12:15], s[0:1], 0x18
	s_load_dwordx4 s[4:7], s[0:1], 0x0
	;; [unrolled: 1-line block ×3, first 2 shown]
	v_mul_u32_u24_e32 v1, 0x691, v0
	v_lshrrev_b32_e32 v2, 16, v1
	s_waitcnt lgkmcnt(0)
	s_load_dwordx2 s[18:19], s[12:13], 0x0
	s_load_dwordx2 s[16:17], s[14:15], 0x0
	v_mad_u64_u32 v[2:3], s[2:3], s2, 3, v[2:3]
	v_mov_b32_e32 v6, 0
	v_mov_b32_e32 v3, v6
	v_cmp_lt_u64_e64 s[2:3], s[6:7], 2
	v_mov_b64_e32 v[4:5], 0
	s_and_b64 vcc, exec, s[2:3]
	v_mov_b64_e32 v[16:17], v[4:5]
	v_mov_b64_e32 v[18:19], v[2:3]
	s_cbranch_vccnz .LBB0_8
; %bb.1:
	s_load_dwordx2 s[2:3], s[0:1], 0x10
	s_add_u32 s20, s14, 8
	s_addc_u32 s21, s15, 0
	s_add_u32 s22, s12, 8
	s_addc_u32 s23, s13, 0
	s_waitcnt lgkmcnt(0)
	s_add_u32 s24, s2, 8
	v_mov_b64_e32 v[4:5], 0
	s_addc_u32 s25, s3, 0
	s_mov_b64 s[26:27], 1
	v_mov_b64_e32 v[16:17], v[4:5]
	v_mov_b64_e32 v[8:9], v[2:3]
.LBB0_2:                                ; =>This Inner Loop Header: Depth=1
	s_load_dwordx2 s[28:29], s[24:25], 0x0
                                        ; implicit-def: $vgpr18_vgpr19
	s_waitcnt lgkmcnt(0)
	v_or_b32_e32 v7, s29, v9
	v_cmp_ne_u64_e32 vcc, 0, v[6:7]
	s_and_saveexec_b64 s[2:3], vcc
	s_xor_b64 s[30:31], exec, s[2:3]
	s_cbranch_execz .LBB0_4
; %bb.3:                                ;   in Loop: Header=BB0_2 Depth=1
	v_cvt_f32_u32_e32 v1, s28
	v_cvt_f32_u32_e32 v3, s29
	s_sub_u32 s2, 0, s28
	s_subb_u32 s3, 0, s29
	v_fmac_f32_e32 v1, 0x4f800000, v3
	v_rcp_f32_e32 v1, v1
	s_nop 0
	v_mul_f32_e32 v1, 0x5f7ffffc, v1
	v_mul_f32_e32 v3, 0x2f800000, v1
	v_trunc_f32_e32 v3, v3
	v_fmac_f32_e32 v1, 0xcf800000, v3
	v_cvt_u32_f32_e32 v3, v3
	v_cvt_u32_f32_e32 v1, v1
	v_mul_lo_u32 v7, s2, v3
	v_mul_hi_u32 v10, s2, v1
	v_mul_lo_u32 v11, s3, v1
	v_add_u32_e32 v7, v10, v7
	v_mul_lo_u32 v14, s2, v1
	v_add_u32_e32 v7, v7, v11
	v_mul_hi_u32 v10, v1, v14
	v_mul_hi_u32 v13, v1, v7
	v_mul_lo_u32 v12, v1, v7
	v_mov_b32_e32 v11, v6
	v_lshl_add_u64 v[10:11], v[10:11], 0, v[12:13]
	v_mul_hi_u32 v13, v3, v14
	v_mul_lo_u32 v14, v3, v14
	v_add_co_u32_e32 v10, vcc, v10, v14
	v_mul_hi_u32 v12, v3, v7
	s_nop 0
	v_addc_co_u32_e32 v10, vcc, v11, v13, vcc
	v_mov_b32_e32 v11, v6
	s_nop 0
	v_addc_co_u32_e32 v13, vcc, 0, v12, vcc
	v_mul_lo_u32 v12, v3, v7
	v_lshl_add_u64 v[10:11], v[10:11], 0, v[12:13]
	v_add_co_u32_e32 v1, vcc, v1, v10
	v_mul_hi_u32 v10, s2, v1
	s_nop 0
	v_addc_co_u32_e32 v3, vcc, v3, v11, vcc
	v_mul_lo_u32 v7, s2, v3
	v_add_u32_e32 v7, v10, v7
	v_mul_lo_u32 v10, s3, v1
	v_add_u32_e32 v7, v7, v10
	v_mul_lo_u32 v12, s2, v1
	v_mul_hi_u32 v15, v3, v12
	v_mul_lo_u32 v18, v3, v12
	v_mul_hi_u32 v11, v1, v7
	v_mul_lo_u32 v10, v1, v7
	v_mul_hi_u32 v12, v1, v12
	v_mov_b32_e32 v13, v6
	v_lshl_add_u64 v[10:11], v[12:13], 0, v[10:11]
	v_add_co_u32_e32 v10, vcc, v10, v18
	v_mul_hi_u32 v14, v3, v7
	s_nop 0
	v_addc_co_u32_e32 v10, vcc, v11, v15, vcc
	v_mul_lo_u32 v12, v3, v7
	s_nop 0
	v_addc_co_u32_e32 v13, vcc, 0, v14, vcc
	v_mov_b32_e32 v11, v6
	v_lshl_add_u64 v[10:11], v[10:11], 0, v[12:13]
	v_add_co_u32_e32 v1, vcc, v1, v10
	v_mul_hi_u32 v12, v8, v1
	s_nop 0
	v_addc_co_u32_e32 v3, vcc, v3, v11, vcc
	v_mad_u64_u32 v[10:11], s[2:3], v8, v3, 0
	v_mov_b32_e32 v13, v6
	v_lshl_add_u64 v[10:11], v[12:13], 0, v[10:11]
	v_mad_u64_u32 v[14:15], s[2:3], v9, v1, 0
	v_add_co_u32_e32 v1, vcc, v10, v14
	v_mad_u64_u32 v[12:13], s[2:3], v9, v3, 0
	s_nop 0
	v_addc_co_u32_e32 v10, vcc, v11, v15, vcc
	v_mov_b32_e32 v11, v6
	s_nop 0
	v_addc_co_u32_e32 v13, vcc, 0, v13, vcc
	v_lshl_add_u64 v[10:11], v[10:11], 0, v[12:13]
	v_mul_lo_u32 v1, s29, v10
	v_mul_lo_u32 v3, s28, v11
	v_mad_u64_u32 v[12:13], s[2:3], s28, v10, 0
	v_add3_u32 v1, v13, v3, v1
	v_sub_u32_e32 v3, v9, v1
	v_mov_b32_e32 v7, s29
	v_sub_co_u32_e32 v18, vcc, v8, v12
	v_lshl_add_u64 v[14:15], v[10:11], 0, 1
	s_nop 0
	v_subb_co_u32_e64 v3, s[2:3], v3, v7, vcc
	v_subrev_co_u32_e64 v7, s[2:3], s28, v18
	v_subb_co_u32_e32 v1, vcc, v9, v1, vcc
	s_nop 0
	v_subbrev_co_u32_e64 v3, s[2:3], 0, v3, s[2:3]
	v_cmp_le_u32_e64 s[2:3], s29, v3
	v_cmp_le_u32_e32 vcc, s29, v1
	s_nop 0
	v_cndmask_b32_e64 v12, 0, -1, s[2:3]
	v_cmp_le_u32_e64 s[2:3], s28, v7
	s_nop 1
	v_cndmask_b32_e64 v7, 0, -1, s[2:3]
	v_cmp_eq_u32_e64 s[2:3], s29, v3
	s_nop 1
	v_cndmask_b32_e64 v3, v12, v7, s[2:3]
	v_lshl_add_u64 v[12:13], v[10:11], 0, 2
	v_cmp_ne_u32_e64 s[2:3], 0, v3
	v_cndmask_b32_e64 v7, 0, -1, vcc
	v_cmp_le_u32_e32 vcc, s28, v18
	v_cndmask_b32_e64 v3, v15, v13, s[2:3]
	s_nop 0
	v_cndmask_b32_e64 v13, 0, -1, vcc
	v_cmp_eq_u32_e32 vcc, s29, v1
	s_nop 1
	v_cndmask_b32_e32 v1, v7, v13, vcc
	v_cmp_ne_u32_e32 vcc, 0, v1
	v_cndmask_b32_e64 v1, v14, v12, s[2:3]
	s_nop 0
	v_cndmask_b32_e32 v19, v11, v3, vcc
	v_cndmask_b32_e32 v18, v10, v1, vcc
.LBB0_4:                                ;   in Loop: Header=BB0_2 Depth=1
	s_andn2_saveexec_b64 s[2:3], s[30:31]
	s_cbranch_execz .LBB0_6
; %bb.5:                                ;   in Loop: Header=BB0_2 Depth=1
	v_cvt_f32_u32_e32 v1, s28
	s_sub_i32 s30, 0, s28
	v_mov_b32_e32 v19, v6
	v_rcp_iflag_f32_e32 v1, v1
	s_nop 0
	v_mul_f32_e32 v1, 0x4f7ffffe, v1
	v_cvt_u32_f32_e32 v1, v1
	v_mul_lo_u32 v3, s30, v1
	v_mul_hi_u32 v3, v1, v3
	v_add_u32_e32 v1, v1, v3
	v_mul_hi_u32 v1, v8, v1
	v_mul_lo_u32 v3, v1, s28
	v_sub_u32_e32 v3, v8, v3
	v_add_u32_e32 v7, 1, v1
	v_subrev_u32_e32 v10, s28, v3
	v_cmp_le_u32_e32 vcc, s28, v3
	s_nop 1
	v_cndmask_b32_e32 v3, v3, v10, vcc
	v_cndmask_b32_e32 v1, v1, v7, vcc
	v_add_u32_e32 v7, 1, v1
	v_cmp_le_u32_e32 vcc, s28, v3
	s_nop 1
	v_cndmask_b32_e32 v18, v1, v7, vcc
.LBB0_6:                                ;   in Loop: Header=BB0_2 Depth=1
	s_or_b64 exec, exec, s[2:3]
	v_mad_u64_u32 v[10:11], s[2:3], v18, s28, 0
	s_load_dwordx2 s[2:3], s[22:23], 0x0
	s_add_u32 s26, s26, 1
	v_mul_lo_u32 v1, v19, s28
	v_mul_lo_u32 v3, v18, s29
	s_load_dwordx2 s[28:29], s[20:21], 0x0
	s_addc_u32 s27, s27, 0
	v_add3_u32 v1, v11, v3, v1
	v_sub_co_u32_e32 v3, vcc, v8, v10
	s_add_u32 s20, s20, 8
	s_nop 0
	v_subb_co_u32_e32 v1, vcc, v9, v1, vcc
	s_addc_u32 s21, s21, 0
	s_waitcnt lgkmcnt(0)
	v_mul_lo_u32 v7, s2, v1
	v_mul_lo_u32 v8, s3, v3
	v_mad_u64_u32 v[4:5], s[2:3], s2, v3, v[4:5]
	s_add_u32 s22, s22, 8
	v_add3_u32 v5, v8, v5, v7
	s_addc_u32 s23, s23, 0
	v_mov_b64_e32 v[8:9], s[6:7]
	v_mul_lo_u32 v1, s28, v1
	v_mul_lo_u32 v7, s29, v3
	v_mad_u64_u32 v[16:17], s[2:3], s28, v3, v[16:17]
	s_add_u32 s24, s24, 8
	v_cmp_ge_u64_e32 vcc, s[26:27], v[8:9]
	v_add3_u32 v17, v7, v17, v1
	s_addc_u32 s25, s25, 0
	s_cbranch_vccnz .LBB0_8
; %bb.7:                                ;   in Loop: Header=BB0_2 Depth=1
	v_mov_b64_e32 v[8:9], v[18:19]
	s_branch .LBB0_2
.LBB0_8:
	s_load_dwordx2 s[0:1], s[0:1], 0x28
	s_lshl_b64 s[20:21], s[6:7], 3
	s_add_u32 s2, s14, s20
	s_addc_u32 s3, s15, s21
	s_load_dwordx2 s[2:3], s[2:3], 0x0
	s_waitcnt lgkmcnt(0)
	v_cmp_gt_u64_e32 vcc, s[0:1], v[18:19]
	s_mov_b32 s0, 0x6906907
	v_mul_hi_u32 v1, v0, s0
	v_mul_u32_u24_e32 v1, 39, v1
	v_sub_u32_e32 v132, v0, v1
	v_mov_b32_e32 v0, 0
	v_mov_b32_e32 v133, 0
	;; [unrolled: 1-line block ×3, first 2 shown]
                                        ; implicit-def: $vgpr30
                                        ; implicit-def: $vgpr32
                                        ; implicit-def: $vgpr34
                                        ; implicit-def: $vgpr36
                                        ; implicit-def: $vgpr38
                                        ; implicit-def: $vgpr10
                                        ; implicit-def: $vgpr40
                                        ; implicit-def: $vgpr42
                                        ; implicit-def: $vgpr44
                                        ; implicit-def: $vgpr46
                                        ; implicit-def: $vgpr12
                                        ; implicit-def: $vgpr26
	s_and_saveexec_b64 s[6:7], vcc
	s_cbranch_execz .LBB0_12
; %bb.9:
	v_cmp_gt_u32_e64 s[0:1], 33, v132
	v_mov_b32_e32 v1, 0
	v_mov_b32_e32 v0, 0
                                        ; implicit-def: $vgpr27
                                        ; implicit-def: $vgpr13
                                        ; implicit-def: $vgpr47
                                        ; implicit-def: $vgpr45
                                        ; implicit-def: $vgpr43
                                        ; implicit-def: $vgpr41
                                        ; implicit-def: $vgpr11
                                        ; implicit-def: $vgpr39
                                        ; implicit-def: $vgpr37
                                        ; implicit-def: $vgpr35
                                        ; implicit-def: $vgpr33
                                        ; implicit-def: $vgpr31
	s_and_saveexec_b64 s[14:15], s[0:1]
	s_cbranch_execz .LBB0_11
; %bb.10:
	s_add_u32 s0, s12, s20
	s_addc_u32 s1, s13, s21
	s_load_dwordx2 s[0:1], s[0:1], 0x0
	s_waitcnt lgkmcnt(0)
	v_mul_lo_u32 v3, s1, v18
	v_mul_lo_u32 v6, s0, v19
	v_mad_u64_u32 v[0:1], s[0:1], s0, v18, 0
	v_add3_u32 v1, v1, v6, v3
	v_mad_u64_u32 v[6:7], s[0:1], s18, v132, 0
	v_mov_b32_e32 v8, v7
	v_lshl_add_u64 v[0:1], v[0:1], 3, s[8:9]
	v_add_u32_e32 v3, 33, v132
	v_mad_u64_u32 v[8:9], s[0:1], s19, v132, v[8:9]
	v_lshl_add_u64 v[4:5], v[4:5], 3, v[0:1]
	v_mad_u64_u32 v[0:1], s[0:1], s18, v3, 0
	v_mov_b32_e32 v7, v8
	v_mov_b32_e32 v8, v1
	v_mad_u64_u32 v[8:9], s[0:1], s19, v3, v[8:9]
	v_mov_b32_e32 v1, v8
	v_add_u32_e32 v3, 0x42, v132
	v_lshl_add_u64 v[8:9], v[0:1], 3, v[4:5]
	v_mad_u64_u32 v[0:1], s[0:1], s18, v3, 0
	v_mov_b32_e32 v10, v1
	v_mad_u64_u32 v[10:11], s[0:1], s19, v3, v[10:11]
	v_mov_b32_e32 v1, v10
	v_add_u32_e32 v3, 0x63, v132
	v_lshl_add_u64 v[14:15], v[0:1], 3, v[4:5]
	v_mad_u64_u32 v[0:1], s[0:1], s18, v3, 0
	v_mov_b32_e32 v10, v1
	v_mad_u64_u32 v[10:11], s[0:1], s19, v3, v[10:11]
	v_lshl_add_u64 v[6:7], v[6:7], 3, v[4:5]
	v_mov_b32_e32 v1, v10
	v_add_u32_e32 v3, 0x84, v132
	v_lshl_add_u64 v[20:21], v[0:1], 3, v[4:5]
	global_load_dwordx2 v[0:1], v[6:7], off
	global_load_dwordx2 v[26:27], v[8:9], off
	;; [unrolled: 1-line block ×4, first 2 shown]
	v_mad_u64_u32 v[6:7], s[0:1], s18, v3, 0
	v_mov_b32_e32 v8, v7
	v_mad_u64_u32 v[8:9], s[0:1], s19, v3, v[8:9]
	v_add_u32_e32 v3, 0xa5, v132
	v_mov_b32_e32 v7, v8
	v_mad_u64_u32 v[8:9], s[0:1], s18, v3, 0
	v_mov_b32_e32 v14, v9
	v_mad_u64_u32 v[14:15], s[0:1], s19, v3, v[14:15]
	v_add_u32_e32 v3, 0xc6, v132
	v_mov_b32_e32 v9, v14
	;; [unrolled: 5-line block ×7, first 2 shown]
	v_mad_u64_u32 v[30:31], s[0:1], s18, v3, 0
	v_mov_b32_e32 v32, v31
	v_mad_u64_u32 v[32:33], s[0:1], s19, v3, v[32:33]
	v_mov_b32_e32 v31, v32
	v_add_u32_e32 v3, 0x18c, v132
	v_lshl_add_u64 v[48:49], v[30:31], 3, v[4:5]
	v_mad_u64_u32 v[30:31], s[0:1], s18, v3, 0
	v_mov_b32_e32 v32, v31
	v_mad_u64_u32 v[32:33], s[0:1], s19, v3, v[32:33]
	v_lshl_add_u64 v[6:7], v[6:7], 3, v[4:5]
	v_mov_b32_e32 v31, v32
	v_lshl_add_u64 v[8:9], v[8:9], 3, v[4:5]
	v_lshl_add_u64 v[14:15], v[14:15], 3, v[4:5]
	;; [unrolled: 1-line block ×7, first 2 shown]
	global_load_dwordx2 v[40:41], v[6:7], off
	global_load_dwordx2 v[42:43], v[8:9], off
	;; [unrolled: 1-line block ×9, first 2 shown]
.LBB0_11:
	s_or_b64 exec, exec, s[14:15]
	v_mov_b32_e32 v133, v132
.LBB0_12:
	s_or_b64 exec, exec, s[6:7]
	s_mov_b32 s0, 0xaaaaaaab
	v_mul_hi_u32 v3, v2, s0
	v_lshrrev_b32_e32 v3, 1, v3
	v_lshl_add_u32 v3, v3, 1, v3
	v_sub_u32_e32 v136, v2, v3
	s_waitcnt vmcnt(0)
	v_pk_add_f32 v[4:5], v[26:27], v[30:31] neg_lo:[0,1] neg_hi:[0,1]
	v_pk_add_f32 v[48:49], v[26:27], v[30:31]
	v_pk_add_f32 v[2:3], v[26:27], v[30:31]
	v_mov_b32_e32 v49, v4
	v_mov_b32_e32 v2, v5
	v_pk_add_f32 v[6:7], v[12:13], v[32:33] neg_lo:[0,1] neg_hi:[0,1]
	v_pk_add_f32 v[52:53], v[12:13], v[32:33]
	v_pk_add_f32 v[4:5], v[12:13], v[32:33]
	v_mov_b32_e32 v53, v6
	v_mov_b32_e32 v4, v7
	v_pk_add_f32 v[50:51], v[10:11], v[34:35]
	v_pk_add_f32 v[8:9], v[10:11], v[34:35] neg_lo:[0,1] neg_hi:[0,1]
	v_pk_add_f32 v[6:7], v[10:11], v[34:35]
	s_mov_b32 s6, 0xbf52af12
	v_mov_b32_e32 v51, v8
	v_mov_b32_e32 v6, v9
	v_pk_add_f32 v[54:55], v[40:41], v[36:37]
	v_pk_add_f32 v[14:15], v[40:41], v[36:37] neg_lo:[0,1] neg_hi:[0,1]
	v_pk_add_f32 v[8:9], v[40:41], v[36:37]
	s_mov_b32 s7, 0x3f116cb1
	s_mov_b32 s8, 0xbf6f5d39
	v_mov_b32_e32 v55, v14
	v_mov_b32_e32 v8, v15
	v_pk_add_f32 v[56:57], v[42:43], v[38:39]
	v_pk_add_f32 v[20:21], v[42:43], v[38:39] neg_lo:[0,1] neg_hi:[0,1]
	v_pk_add_f32 v[14:15], v[42:43], v[38:39]
	s_mov_b32 s30, s7
	s_mov_b32 s31, s6
	;; [unrolled: 1-line block ×3, first 2 shown]
	v_mov_b32_e32 v57, v20
	v_mov_b32_e32 v14, v21
	v_pk_add_f32 v[58:59], v[44:45], v[46:47]
	v_pk_add_f32 v[20:21], v[44:45], v[46:47] neg_lo:[0,1] neg_hi:[0,1]
	v_pk_add_f32 v[28:29], v[44:45], v[46:47]
	v_pk_mul_f32 v[60:61], v[48:49], s[30:31]
	s_mov_b32 s24, s9
	s_mov_b32 s25, s8
	;; [unrolled: 1-line block ×3, first 2 shown]
	v_mov_b32_e32 v59, v20
	v_mov_b32_e32 v28, v21
	v_pk_fma_f32 v[20:21], v[2:3], s[6:7], v[60:61] neg_lo:[0,0,1] neg_hi:[0,0,1]
	v_pk_fma_f32 v[62:63], v[2:3], s[6:7], v[60:61]
	v_pk_mul_f32 v[64:65], v[52:53], s[24:25]
	s_mov_b32 s13, 0xbf788fa5
	v_mov_b32_e32 v20, v62
	v_pk_fma_f32 v[22:23], v[4:5], s[8:9], v[64:65] neg_lo:[0,0,1] neg_hi:[0,0,1]
	v_pk_fma_f32 v[66:67], v[4:5], s[8:9], v[64:65]
	s_mov_b32 s28, s13
	s_mov_b32 s29, s12
	;; [unrolled: 1-line block ×3, first 2 shown]
	v_pk_add_f32 v[20:21], v[0:1], v[20:21]
	v_mov_b32_e32 v22, v66
	v_pk_mul_f32 v[68:69], v[50:51], s[28:29]
	s_mov_b32 s45, 0xbf3f9e67
	v_pk_add_f32 v[20:21], v[20:21], v[22:23]
	v_pk_fma_f32 v[22:23], v[6:7], s[12:13], v[68:69] neg_lo:[0,0,1] neg_hi:[0,0,1]
	v_pk_fma_f32 v[70:71], v[6:7], s[12:13], v[68:69]
	s_mov_b32 s0, s45
	s_mov_b32 s1, s44
	;; [unrolled: 1-line block ×3, first 2 shown]
	v_mov_b32_e32 v22, v70
	v_pk_mul_f32 v[74:75], v[54:55], s[0:1]
	s_mov_b32 s19, 0x3df6dbef
	v_pk_add_f32 v[20:21], v[20:21], v[22:23]
	v_pk_fma_f32 v[22:23], v[8:9], s[44:45], v[74:75] neg_lo:[0,0,1] neg_hi:[0,0,1]
	v_pk_fma_f32 v[72:73], v[8:9], s[44:45], v[74:75]
	s_mov_b32 s26, s19
	s_mov_b32 s27, s18
	;; [unrolled: 1-line block ×3, first 2 shown]
	v_mov_b32_e32 v22, v72
	v_pk_mul_f32 v[78:79], v[56:57], s[26:27]
	s_mov_b32 s21, 0x3f62ad3f
	v_pk_add_f32 v[20:21], v[20:21], v[22:23]
	v_pk_fma_f32 v[22:23], v[14:15], s[18:19], v[78:79] neg_lo:[0,0,1] neg_hi:[0,0,1]
	v_pk_fma_f32 v[76:77], v[14:15], s[18:19], v[78:79]
	s_mov_b32 s36, s21
	s_mov_b32 s37, s20
	v_mov_b32_e32 v22, v76
	v_pk_mul_f32 v[82:83], v[58:59], s[36:37]
	s_mov_b32 s14, 0xbf7e222b
	v_pk_add_f32 v[20:21], v[20:21], v[22:23]
	v_pk_fma_f32 v[22:23], v[28:29], s[20:21], v[82:83] neg_lo:[0,0,1] neg_hi:[0,0,1]
	v_pk_fma_f32 v[80:81], v[28:29], s[20:21], v[82:83]
	s_mov_b32 s52, s19
	s_mov_b32 s53, s14
	v_mov_b32_e32 v22, v80
	s_mov_b32 s15, s19
	v_pk_mul_f32 v[88:89], v[48:49], s[52:53]
	v_pk_add_f32 v[20:21], v[20:21], v[22:23]
	v_pk_fma_f32 v[84:85], v[2:3], s[14:15], v[88:89]
	v_pk_fma_f32 v[22:23], v[2:3], s[14:15], v[88:89] neg_lo:[0,0,1] neg_hi:[0,0,1]
	v_pk_mul_f32 v[90:91], v[52:53], s[28:29]
	s_mov_b32 s50, 0x3f6f5d39
	v_mov_b32_e32 v22, v84
	v_pk_fma_f32 v[86:87], v[4:5], s[12:13], v[90:91]
	v_pk_fma_f32 v[24:25], v[4:5], s[12:13], v[90:91] neg_lo:[0,0,1] neg_hi:[0,0,1]
	s_mov_b32 s22, s9
	s_mov_b32 s23, s50
	v_pk_add_f32 v[22:23], v[0:1], v[22:23]
	v_mov_b32_e32 v24, v86
	s_mov_b32 s51, s9
	v_pk_mul_f32 v[94:95], v[50:51], s[22:23]
	v_pk_add_f32 v[22:23], v[22:23], v[24:25]
	v_pk_fma_f32 v[92:93], v[6:7], s[50:51], v[94:95]
	v_pk_fma_f32 v[24:25], v[6:7], s[50:51], v[94:95] neg_lo:[0,0,1] neg_hi:[0,0,1]
	v_pk_mul_f32 v[98:99], v[54:55], s[36:37]
	v_mov_b32_e32 v24, v92
	v_pk_add_f32 v[22:23], v[22:23], v[24:25]
	v_pk_fma_f32 v[96:97], v[8:9], s[20:21], v[98:99]
	v_pk_fma_f32 v[24:25], v[8:9], s[20:21], v[98:99] neg_lo:[0,0,1] neg_hi:[0,0,1]
	v_pk_mul_f32 v[102:103], v[56:57], s[30:31]
	v_mov_b32_e32 v24, v96
	s_mov_b32 s22, 0xbf29c268
	v_pk_add_f32 v[22:23], v[22:23], v[24:25]
	v_pk_fma_f32 v[100:101], v[14:15], s[6:7], v[102:103]
	v_pk_fma_f32 v[24:25], v[14:15], s[6:7], v[102:103] neg_lo:[0,0,1] neg_hi:[0,0,1]
	s_mov_b32 s40, s45
	s_mov_b32 s41, s22
	v_mov_b32_e32 v24, v100
	s_mov_b32 s23, s45
	v_pk_mul_f32 v[118:119], v[58:59], s[40:41]
	v_pk_add_f32 v[22:23], v[22:23], v[24:25]
	v_pk_fma_f32 v[114:115], v[28:29], s[22:23], v[118:119]
	v_pk_fma_f32 v[24:25], v[28:29], s[22:23], v[118:119] neg_lo:[0,0,1] neg_hi:[0,0,1]
	v_pk_mul_f32 v[106:107], v[48:49], s[24:25]
	v_mov_b32_e32 v24, v114
	v_pk_add_f32 v[22:23], v[22:23], v[24:25]
	v_pk_fma_f32 v[104:105], v[2:3], s[8:9], v[106:107]
	v_pk_fma_f32 v[24:25], v[2:3], s[8:9], v[106:107] neg_lo:[0,0,1] neg_hi:[0,0,1]
	v_pk_mul_f32 v[110:111], v[52:53], s[0:1]
	v_mov_b32_e32 v24, v104
	v_pk_fma_f32 v[108:109], v[4:5], s[44:45], v[110:111]
	v_pk_fma_f32 v[112:113], v[4:5], s[44:45], v[110:111] neg_lo:[0,0,1] neg_hi:[0,0,1]
	v_pk_add_f32 v[24:25], v[0:1], v[24:25]
	v_mov_b32_e32 v112, v108
	v_pk_mul_f32 v[116:117], v[50:51], s[36:37]
	v_pk_add_f32 v[24:25], v[24:25], v[112:113]
	v_pk_fma_f32 v[112:113], v[6:7], s[20:21], v[116:117]
	v_pk_fma_f32 v[120:121], v[6:7], s[20:21], v[116:117] neg_lo:[0,0,1] neg_hi:[0,0,1]
	v_pk_mul_f32 v[122:123], v[54:55], s[52:53]
	v_mov_b32_e32 v120, v112
	s_mov_b32 s38, 0x3e750f2a
	v_pk_add_f32 v[24:25], v[24:25], v[120:121]
	v_pk_fma_f32 v[120:121], v[8:9], s[14:15], v[122:123]
	v_pk_fma_f32 v[124:125], v[8:9], s[14:15], v[122:123] neg_lo:[0,0,1] neg_hi:[0,0,1]
	s_mov_b32 s48, s13
	s_mov_b32 s49, s38
	v_mov_b32_e32 v124, v120
	s_mov_b32 s39, s13
	v_pk_mul_f32 v[126:127], v[56:57], s[48:49]
	s_mov_b32 s42, 0x3f52af12
	v_pk_add_f32 v[24:25], v[24:25], v[124:125]
	v_pk_fma_f32 v[124:125], v[14:15], s[38:39], v[126:127]
	v_pk_fma_f32 v[128:129], v[14:15], s[38:39], v[126:127] neg_lo:[0,0,1] neg_hi:[0,0,1]
	s_mov_b32 s46, s7
	s_mov_b32 s47, s42
	v_mov_b32_e32 v128, v124
	s_mov_b32 s43, s7
	v_pk_mul_f32 v[130:131], v[58:59], s[46:47]
	v_pk_add_f32 v[24:25], v[24:25], v[128:129]
	v_pk_fma_f32 v[128:129], v[28:29], s[42:43], v[130:131]
	v_pk_fma_f32 v[134:135], v[28:29], s[42:43], v[130:131] neg_lo:[0,0,1] neg_hi:[0,0,1]
	v_mul_u32_u24_e32 v62, 0x1ad, v136
	v_mov_b32_e32 v134, v128
	v_pk_add_f32 v[24:25], v[24:25], v[134:135]
	v_cmp_gt_u32_e64 s[0:1], 33, v132
	v_lshlrev_b32_e32 v62, 3, v62
	s_and_saveexec_b64 s[34:35], s[0:1]
	s_cbranch_execz .LBB0_14
; %bb.13:
	v_pk_add_f32 v[26:27], v[0:1], v[26:27]
	s_mov_b32 s1, 0xbeedf032
	v_pk_add_f32 v[12:13], v[26:27], v[12:13]
	s_mov_b32 s0, s21
	v_pk_add_f32 v[10:11], v[12:13], v[10:11]
	s_nop 0
	v_pk_add_f32 v[10:11], v[10:11], v[40:41]
	s_nop 0
	;; [unrolled: 2-line block ×9, first 2 shown]
	v_pk_add_f32 v[134:135], v[30:31], v[10:11]
	v_pk_mul_f32 v[10:11], v[48:49], s[0:1]
	s_mov_b32 s0, s1
	s_mov_b32 s1, s21
	v_pk_fma_f32 v[26:27], v[2:3], s[0:1], v[10:11] neg_lo:[1,0,0] neg_hi:[1,0,0]
	v_pk_fma_f32 v[12:13], v[2:3], s[0:1], v[10:11]
	v_pk_mul_f32 v[30:31], v[52:53], s[30:31]
	v_mov_b32_e32 v27, v13
	v_pk_add_f32 v[32:33], v[0:1], v[26:27]
	v_pk_fma_f32 v[34:35], v[4:5], s[6:7], v[30:31] neg_lo:[1,0,0] neg_hi:[1,0,0]
	v_pk_fma_f32 v[26:27], v[4:5], s[6:7], v[30:31]
	v_mul_u32_u24_e32 v13, 0x68, v132
	v_mov_b32_e32 v35, v27
	v_pk_add_f32 v[36:37], v[32:33], v[34:35]
	v_pk_mul_f32 v[34:35], v[50:51], s[52:53]
	v_add3_u32 v104, 0, v13, v62
	v_pk_fma_f32 v[38:39], v[6:7], s[14:15], v[34:35] neg_lo:[1,0,0] neg_hi:[1,0,0]
	v_pk_fma_f32 v[32:33], v[6:7], s[14:15], v[34:35]
	s_nop 0
	v_mov_b32_e32 v39, v33
	v_pk_add_f32 v[40:41], v[36:37], v[38:39]
	v_pk_mul_f32 v[38:39], v[54:55], s[24:25]
	s_nop 0
	v_pk_fma_f32 v[42:43], v[8:9], s[8:9], v[38:39] neg_lo:[1,0,0] neg_hi:[1,0,0]
	v_pk_fma_f32 v[36:37], v[8:9], s[8:9], v[38:39]
	s_nop 0
	v_mov_b32_e32 v43, v37
	v_pk_add_f32 v[44:45], v[40:41], v[42:43]
	v_pk_mul_f32 v[42:43], v[56:57], s[40:41]
	s_nop 0
	;; [unrolled: 7-line block ×3, first 2 shown]
	v_pk_fma_f32 v[138:139], v[28:29], s[12:13], v[46:47] neg_lo:[1,0,0] neg_hi:[1,0,0]
	v_pk_fma_f32 v[44:45], v[28:29], s[12:13], v[46:47]
	s_nop 0
	v_mov_b32_e32 v139, v45
	v_pk_add_f32 v[136:137], v[136:137], v[138:139]
	ds_write2_b64 v104, v[134:135], v[136:137] offset1:1
	v_pk_mul_f32 v[134:135], v[2:3], s[6:7]
	s_nop 0
	v_pk_add_f32 v[60:61], v[60:61], v[134:135] neg_lo:[0,1] neg_hi:[0,1]
	v_pk_mul_f32 v[134:135], v[4:5], s[8:9]
	v_mov_b32_e32 v61, v63
	v_pk_add_f32 v[64:65], v[64:65], v[134:135] neg_lo:[0,1] neg_hi:[0,1]
	v_pk_add_f32 v[60:61], v[0:1], v[60:61]
	v_mov_b32_e32 v65, v67
	v_pk_add_f32 v[60:61], v[60:61], v[64:65]
	v_pk_mul_f32 v[64:65], v[6:7], s[12:13]
	v_pk_mul_f32 v[66:67], v[14:15], s[18:19]
	v_pk_add_f32 v[64:65], v[68:69], v[64:65] neg_lo:[0,1] neg_hi:[0,1]
	v_pk_add_f32 v[66:67], v[78:79], v[66:67] neg_lo:[0,1] neg_hi:[0,1]
	v_mov_b32_e32 v65, v71
	v_pk_add_f32 v[60:61], v[60:61], v[64:65]
	v_pk_mul_f32 v[64:65], v[8:9], s[44:45]
	v_pk_mul_f32 v[70:71], v[4:5], s[12:13]
	v_pk_add_f32 v[64:65], v[74:75], v[64:65] neg_lo:[0,1] neg_hi:[0,1]
	v_mov_b32_e32 v67, v77
	v_mov_b32_e32 v65, v73
	v_pk_add_f32 v[60:61], v[60:61], v[64:65]
	v_pk_mul_f32 v[64:65], v[2:3], s[14:15]
	v_pk_mul_f32 v[72:73], v[6:7], s[50:51]
	v_pk_add_f32 v[64:65], v[88:89], v[64:65] neg_lo:[0,1] neg_hi:[0,1]
	v_pk_add_f32 v[70:71], v[90:91], v[70:71] neg_lo:[0,1] neg_hi:[0,1]
	v_mov_b32_e32 v65, v85
	v_pk_add_f32 v[60:61], v[60:61], v[66:67]
	v_pk_mul_f32 v[66:67], v[8:9], s[20:21]
	v_mov_b32_e32 v71, v87
	v_pk_add_f32 v[64:65], v[0:1], v[64:65]
	v_pk_add_f32 v[72:73], v[94:95], v[72:73] neg_lo:[0,1] neg_hi:[0,1]
	v_pk_add_f32 v[64:65], v[64:65], v[70:71]
	v_mov_b32_e32 v73, v93
	v_pk_add_f32 v[66:67], v[98:99], v[66:67] neg_lo:[0,1] neg_hi:[0,1]
	v_pk_mul_f32 v[74:75], v[14:15], s[6:7]
	v_pk_add_f32 v[64:65], v[64:65], v[72:73]
	v_mov_b32_e32 v67, v97
	v_pk_add_f32 v[64:65], v[64:65], v[66:67]
	v_pk_add_f32 v[66:67], v[102:103], v[74:75] neg_lo:[0,1] neg_hi:[0,1]
	v_pk_mul_f32 v[68:69], v[28:29], s[20:21]
	v_pk_mul_f32 v[76:77], v[28:29], s[22:23]
	v_mov_b32_e32 v67, v101
	v_pk_add_f32 v[68:69], v[82:83], v[68:69] neg_lo:[0,1] neg_hi:[0,1]
	v_pk_add_f32 v[64:65], v[64:65], v[66:67]
	v_pk_add_f32 v[66:67], v[118:119], v[76:77] neg_lo:[0,1] neg_hi:[0,1]
	v_mov_b32_e32 v69, v81
	v_mov_b32_e32 v67, v115
	v_pk_add_f32 v[60:61], v[60:61], v[68:69]
	v_pk_mul_f32 v[68:69], v[2:3], s[8:9]
	v_pk_add_f32 v[64:65], v[64:65], v[66:67]
	v_pk_mul_f32 v[78:79], v[4:5], s[44:45]
	ds_write2_b64 v104, v[60:61], v[64:65] offset0:2 offset1:3
	v_pk_add_f32 v[60:61], v[106:107], v[68:69] neg_lo:[0,1] neg_hi:[0,1]
	v_pk_add_f32 v[64:65], v[110:111], v[78:79] neg_lo:[0,1] neg_hi:[0,1]
	v_mov_b32_e32 v61, v105
	v_pk_mul_f32 v[80:81], v[6:7], s[20:21]
	v_pk_add_f32 v[60:61], v[0:1], v[60:61]
	v_mov_b32_e32 v65, v109
	v_pk_add_f32 v[60:61], v[60:61], v[64:65]
	v_pk_add_f32 v[64:65], v[116:117], v[80:81] neg_lo:[0,1] neg_hi:[0,1]
	v_pk_mul_f32 v[82:83], v[8:9], s[14:15]
	v_mov_b32_e32 v65, v113
	v_pk_add_f32 v[60:61], v[60:61], v[64:65]
	v_pk_add_f32 v[64:65], v[122:123], v[82:83] neg_lo:[0,1] neg_hi:[0,1]
	v_pk_mul_f32 v[84:85], v[14:15], s[38:39]
	;; [unrolled: 4-line block ×4, first 2 shown]
	v_mov_b32_e32 v65, v129
	v_pk_add_f32 v[60:61], v[60:61], v[64:65]
	v_pk_mul_f32 v[64:65], v[48:49], s[40:41]
	v_pk_fma_f32 v[72:73], v[4:5], s[18:19], v[70:71] neg_lo:[1,0,0] neg_hi:[1,0,0]
	v_pk_fma_f32 v[66:67], v[2:3], s[22:23], v[64:65] neg_lo:[1,0,0] neg_hi:[1,0,0]
	v_pk_fma_f32 v[68:69], v[2:3], s[22:23], v[64:65]
	v_pk_fma_f32 v[74:75], v[4:5], s[18:19], v[70:71]
	v_mov_b32_e32 v67, v69
	v_pk_add_f32 v[66:67], v[0:1], v[66:67]
	v_mov_b32_e32 v73, v75
	v_pk_add_f32 v[66:67], v[66:67], v[72:73]
	v_pk_mul_f32 v[72:73], v[50:51], s[30:31]
	v_pk_mul_f32 v[48:49], v[48:49], s[28:29]
	v_pk_fma_f32 v[76:77], v[6:7], s[6:7], v[72:73] neg_lo:[1,0,0] neg_hi:[1,0,0]
	v_pk_fma_f32 v[78:79], v[6:7], s[6:7], v[72:73]
	v_pk_mul_f32 v[52:53], v[52:53], s[36:37]
	v_mov_b32_e32 v77, v79
	v_pk_add_f32 v[66:67], v[66:67], v[76:77]
	v_pk_mul_f32 v[76:77], v[54:55], s[48:49]
	v_pk_fma_f32 v[92:93], v[4:5], s[20:21], v[52:53]
	v_pk_fma_f32 v[80:81], v[8:9], s[38:39], v[76:77] neg_lo:[1,0,0] neg_hi:[1,0,0]
	v_pk_fma_f32 v[82:83], v[8:9], s[38:39], v[76:77]
	v_pk_mul_f32 v[50:51], v[50:51], s[40:41]
	v_mov_b32_e32 v81, v83
	v_pk_add_f32 v[66:67], v[66:67], v[80:81]
	v_pk_mul_f32 v[80:81], v[56:57], s[36:37]
	v_pk_fma_f32 v[94:95], v[6:7], s[22:23], v[50:51]
	;; [unrolled: 7-line block ×3, first 2 shown]
	v_pk_fma_f32 v[88:89], v[28:29], s[8:9], v[84:85] neg_lo:[1,0,0] neg_hi:[1,0,0]
	v_pk_fma_f32 v[90:91], v[28:29], s[8:9], v[84:85]
	v_pk_mul_f32 v[56:57], v[56:57], s[24:25]
	v_mov_b32_e32 v89, v91
	v_pk_add_f32 v[66:67], v[66:67], v[88:89]
	ds_write2_b64 v104, v[60:61], v[66:67] offset0:4 offset1:5
	v_pk_fma_f32 v[60:61], v[2:3], s[12:13], v[48:49] neg_lo:[1,0,0] neg_hi:[1,0,0]
	v_pk_fma_f32 v[66:67], v[2:3], s[12:13], v[48:49]
	v_pk_fma_f32 v[88:89], v[4:5], s[20:21], v[52:53] neg_lo:[1,0,0] neg_hi:[1,0,0]
	v_mov_b32_e32 v61, v67
	v_pk_add_f32 v[60:61], v[0:1], v[60:61]
	v_mov_b32_e32 v89, v93
	v_pk_add_f32 v[60:61], v[60:61], v[88:89]
	v_pk_fma_f32 v[88:89], v[6:7], s[22:23], v[50:51] neg_lo:[1,0,0] neg_hi:[1,0,0]
	v_pk_fma_f32 v[48:49], v[2:3], s[12:13], v[48:49] neg_lo:[0,0,1] neg_hi:[0,0,1]
	v_mov_b32_e32 v89, v95
	v_pk_add_f32 v[60:61], v[60:61], v[88:89]
	v_pk_fma_f32 v[88:89], v[8:9], s[42:43], v[54:55] neg_lo:[1,0,0] neg_hi:[1,0,0]
	v_mov_b32_e32 v67, v49
	v_pk_fma_f32 v[52:53], v[4:5], s[20:21], v[52:53] neg_lo:[0,0,1] neg_hi:[0,0,1]
	v_mov_b32_e32 v89, v97
	v_pk_add_f32 v[48:49], v[0:1], v[66:67]
	v_mov_b32_e32 v93, v53
	v_pk_fma_f32 v[50:51], v[6:7], s[22:23], v[50:51] neg_lo:[0,0,1] neg_hi:[0,0,1]
	v_pk_add_f32 v[60:61], v[60:61], v[88:89]
	v_pk_fma_f32 v[88:89], v[14:15], s[8:9], v[56:57] neg_lo:[1,0,0] neg_hi:[1,0,0]
	v_pk_fma_f32 v[98:99], v[14:15], s[8:9], v[56:57]
	v_pk_add_f32 v[48:49], v[48:49], v[92:93]
	v_mov_b32_e32 v95, v51
	v_pk_fma_f32 v[50:51], v[8:9], s[42:43], v[54:55] neg_lo:[0,0,1] neg_hi:[0,0,1]
	v_mov_b32_e32 v89, v99
	v_pk_mul_f32 v[58:59], v[58:59], s[26:27]
	v_pk_add_f32 v[48:49], v[48:49], v[94:95]
	v_mov_b32_e32 v97, v51
	v_pk_fma_f32 v[50:51], v[14:15], s[8:9], v[56:57] neg_lo:[0,0,1] neg_hi:[0,0,1]
	v_pk_add_f32 v[60:61], v[60:61], v[88:89]
	v_pk_fma_f32 v[88:89], v[28:29], s[18:19], v[58:59] neg_lo:[1,0,0] neg_hi:[1,0,0]
	v_pk_fma_f32 v[100:101], v[28:29], s[18:19], v[58:59]
	v_pk_add_f32 v[48:49], v[48:49], v[96:97]
	v_mov_b32_e32 v99, v51
	v_pk_fma_f32 v[50:51], v[28:29], s[18:19], v[58:59] neg_lo:[0,0,1] neg_hi:[0,0,1]
	v_mov_b32_e32 v89, v101
	v_pk_add_f32 v[48:49], v[48:49], v[98:99]
	v_mov_b32_e32 v101, v51
	v_pk_add_f32 v[60:61], v[60:61], v[88:89]
	v_pk_add_f32 v[48:49], v[48:49], v[100:101]
	ds_write2_b64 v104, v[60:61], v[48:49] offset0:6 offset1:7
	v_pk_fma_f32 v[48:49], v[2:3], s[22:23], v[64:65] neg_lo:[0,0,1] neg_hi:[0,0,1]
	v_pk_fma_f32 v[2:3], v[2:3], s[0:1], v[10:11] neg_lo:[0,0,1] neg_hi:[0,0,1]
	v_mov_b32_e32 v69, v49
	v_pk_fma_f32 v[50:51], v[4:5], s[18:19], v[70:71] neg_lo:[0,0,1] neg_hi:[0,0,1]
	v_mov_b32_e32 v13, v3
	v_pk_fma_f32 v[2:3], v[4:5], s[6:7], v[30:31] neg_lo:[0,0,1] neg_hi:[0,0,1]
	v_pk_add_f32 v[48:49], v[0:1], v[68:69]
	v_mov_b32_e32 v75, v51
	v_pk_fma_f32 v[50:51], v[6:7], s[6:7], v[72:73] neg_lo:[0,0,1] neg_hi:[0,0,1]
	v_pk_add_f32 v[0:1], v[0:1], v[12:13]
	;; [unrolled: 3-line block ×9, first 2 shown]
	v_mov_b32_e32 v91, v51
	v_pk_add_f32 v[0:1], v[0:1], v[40:41]
	v_mov_b32_e32 v45, v3
	v_pk_add_f32 v[48:49], v[48:49], v[90:91]
	v_pk_add_f32 v[0:1], v[0:1], v[44:45]
	ds_write2_b64 v104, v[48:49], v[24:25] offset0:8 offset1:9
	ds_write2_b64 v104, v[22:23], v[20:21] offset0:10 offset1:11
	ds_write_b64 v104, v[0:1] offset:96
.LBB0_14:
	s_or_b64 exec, exec, s[34:35]
	v_lshlrev_b32_e32 v0, 3, v132
	v_add3_u32 v28, 0, v0, v62
	v_add3_u32 v29, 0, v62, v0
	v_add_u32_e32 v0, 0x400, v28
	v_add_u32_e32 v12, 0x800, v28
	s_waitcnt lgkmcnt(0)
	s_barrier
	ds_read_b64 v[26:27], v29
	ds_read2_b64 v[4:7], v28 offset0:143 offset1:182
	ds_read2_b64 v[8:11], v0 offset0:93 offset1:158
	;; [unrolled: 1-line block ×4, first 2 shown]
	v_cmp_gt_u32_e64 s[0:1], 26, v132
	s_and_saveexec_b64 s[6:7], s[0:1]
	s_cbranch_execz .LBB0_16
; %bb.15:
	v_add_u32_e32 v20, 0x200, v28
	ds_read2_b64 v[30:33], v20 offset0:53 offset1:196
	ds_read_b64 v[20:21], v28 offset:3224
	s_waitcnt lgkmcnt(1)
	v_mov_b32_e32 v23, v33
	v_mov_b32_e32 v22, v32
	v_mov_b64_e32 v[24:25], v[30:31]
.LBB0_16:
	s_or_b64 exec, exec, s[6:7]
	s_movk_i32 s7, 0x4f
	v_add_u16_e32 v31, 39, v132
	v_mul_lo_u16_sdwa v32, v31, s7 dst_sel:DWORD dst_unused:UNUSED_PAD src0_sel:BYTE_0 src1_sel:DWORD
	v_lshrrev_b16_e32 v46, 10, v32
	v_mul_lo_u16_e32 v32, 13, v46
	v_sub_u16_e32 v47, v31, v32
	v_add_u16_e32 v31, 0x4e, v132
	v_mul_lo_u16_sdwa v30, v132, s7 dst_sel:DWORD dst_unused:UNUSED_PAD src0_sel:BYTE_0 src1_sel:DWORD
	v_mul_lo_u16_sdwa v32, v31, s7 dst_sel:DWORD dst_unused:UNUSED_PAD src0_sel:BYTE_0 src1_sel:DWORD
	v_lshrrev_b16_e32 v44, 10, v30
	v_lshrrev_b16_e32 v48, 10, v32
	v_mul_lo_u16_e32 v30, 13, v44
	v_mul_lo_u16_e32 v32, 13, v48
	v_sub_u16_e32 v45, v132, v30
	v_mov_b32_e32 v30, 4
	v_sub_u16_e32 v49, v31, v32
	v_lshlrev_b32_sdwa v31, v30, v49 dst_sel:DWORD dst_unused:UNUSED_PAD src0_sel:DWORD src1_sel:BYTE_0
	global_load_dwordx4 v[32:35], v31, s[4:5]
	v_lshlrev_b32_sdwa v31, v30, v47 dst_sel:DWORD dst_unused:UNUSED_PAD src0_sel:DWORD src1_sel:BYTE_0
	global_load_dwordx4 v[36:39], v31, s[4:5]
	v_lshlrev_b32_sdwa v31, v30, v45 dst_sel:DWORD dst_unused:UNUSED_PAD src0_sel:DWORD src1_sel:BYTE_0
	global_load_dwordx4 v[40:43], v31, s[4:5]
	s_movk_i32 s12, 0x138
	v_mov_b32_e32 v31, 3
	v_mad_u32_u24 v44, v44, s12, 0
	v_mad_u32_u24 v46, v46, s12, 0
	;; [unrolled: 1-line block ×3, first 2 shown]
	v_lshlrev_b32_sdwa v45, v31, v45 dst_sel:DWORD dst_unused:UNUSED_PAD src0_sel:DWORD src1_sel:BYTE_0
	v_lshlrev_b32_sdwa v47, v31, v47 dst_sel:DWORD dst_unused:UNUSED_PAD src0_sel:DWORD src1_sel:BYTE_0
	;; [unrolled: 1-line block ×3, first 2 shown]
	v_add3_u32 v58, v44, v45, v62
	v_add3_u32 v59, v46, v47, v62
	v_add3_u32 v60, v48, v49, v62
	s_mov_b32 s6, 0x3f5db3d7
	s_waitcnt lgkmcnt(0)
	s_barrier
	s_waitcnt vmcnt(2)
	v_pk_mul_f32 v[44:45], v[32:33], v[8:9] op_sel:[0,1]
	v_pk_mul_f32 v[46:47], v[34:35], v[14:15] op_sel:[0,1]
	s_waitcnt vmcnt(1)
	v_pk_mul_f32 v[48:49], v[36:37], v[6:7] op_sel:[0,1]
	v_pk_mul_f32 v[50:51], v[38:39], v[12:13] op_sel:[0,1]
	s_waitcnt vmcnt(0)
	v_pk_mul_f32 v[52:53], v[40:41], v[4:5] op_sel:[0,1]
	v_pk_mul_f32 v[54:55], v[42:43], v[10:11] op_sel:[0,1]
	v_pk_fma_f32 v[56:57], v[32:33], v[8:9], v[44:45] op_sel:[0,0,1] op_sel_hi:[1,1,0] neg_lo:[0,0,1] neg_hi:[0,0,1]
	v_pk_fma_f32 v[8:9], v[32:33], v[8:9], v[44:45] op_sel:[0,0,1] op_sel_hi:[1,0,0]
	v_pk_fma_f32 v[32:33], v[34:35], v[14:15], v[46:47] op_sel:[0,0,1] op_sel_hi:[1,1,0] neg_lo:[0,0,1] neg_hi:[0,0,1]
	v_pk_fma_f32 v[14:15], v[34:35], v[14:15], v[46:47] op_sel:[0,0,1] op_sel_hi:[1,0,0]
	;; [unrolled: 2-line block ×6, first 2 shown]
	v_mov_b32_e32 v35, v7
	v_mov_b32_e32 v37, v13
	;; [unrolled: 1-line block ×6, first 2 shown]
	v_pk_add_f32 v[6:7], v[0:1], v[34:35]
	v_pk_add_f32 v[10:11], v[38:39], v[40:41]
	v_pk_add_f32 v[12:13], v[38:39], v[40:41] neg_lo:[0,1] neg_hi:[0,1]
	v_pk_add_f32 v[14:15], v[34:35], v[36:37]
	v_pk_add_f32 v[34:35], v[34:35], v[36:37] neg_lo:[0,1] neg_hi:[0,1]
	v_pk_add_f32 v[4:5], v[2:3], v[56:57]
	v_pk_fma_f32 v[10:11], v[10:11], 0.5, v[26:27] op_sel_hi:[1,0,1] neg_lo:[1,0,0] neg_hi:[1,0,0]
	v_pk_mul_f32 v[12:13], v[12:13], s[6:7] op_sel_hi:[1,0]
	v_pk_fma_f32 v[0:1], v[14:15], 0.5, v[0:1] op_sel_hi:[1,0,1] neg_lo:[1,0,0] neg_hi:[1,0,0]
	v_pk_mul_f32 v[14:15], v[34:35], s[6:7] op_sel_hi:[1,0]
	v_pk_add_f32 v[8:9], v[26:27], v[38:39]
	v_pk_add_f32 v[38:39], v[56:57], v[32:33]
	v_pk_add_f32 v[42:43], v[56:57], v[32:33] neg_lo:[0,1] neg_hi:[0,1]
	v_pk_add_f32 v[4:5], v[4:5], v[32:33]
	v_pk_add_f32 v[32:33], v[10:11], v[12:13] op_sel:[0,1] op_sel_hi:[1,0]
	v_pk_add_f32 v[10:11], v[10:11], v[12:13] op_sel:[0,1] op_sel_hi:[1,0] neg_lo:[0,1] neg_hi:[0,1]
	v_pk_add_f32 v[12:13], v[0:1], v[14:15] op_sel:[0,1] op_sel_hi:[1,0]
	v_pk_add_f32 v[0:1], v[0:1], v[14:15] op_sel:[0,1] op_sel_hi:[1,0] neg_lo:[0,1] neg_hi:[0,1]
	v_pk_add_f32 v[8:9], v[8:9], v[40:41]
	v_pk_fma_f32 v[2:3], v[38:39], 0.5, v[2:3] op_sel_hi:[1,0,1] neg_lo:[1,0,0] neg_hi:[1,0,0]
	v_pk_mul_f32 v[26:27], v[42:43], s[6:7] op_sel_hi:[1,0]
	v_mov_b32_e32 v34, v32
	v_mov_b32_e32 v35, v11
	;; [unrolled: 1-line block ×5, first 2 shown]
	v_pk_add_f32 v[6:7], v[6:7], v[36:37]
	v_pk_add_f32 v[14:15], v[2:3], v[26:27] op_sel:[0,1] op_sel_hi:[1,0]
	v_mov_b32_e32 v32, v12
	ds_write2_b64 v58, v[8:9], v[34:35] offset1:13
	ds_write_b64 v58, v[10:11] offset:208
	ds_write2_b64 v59, v[6:7], v[32:33] offset1:13
	ds_write_b64 v59, v[0:1] offset:208
	v_pk_add_f32 v[0:1], v[2:3], v[26:27] op_sel:[0,1] op_sel_hi:[1,0] neg_lo:[0,1] neg_hi:[0,1]
	v_mov_b32_e32 v2, v14
	v_mov_b32_e32 v3, v1
	;; [unrolled: 1-line block ×3, first 2 shown]
	ds_write2_b64 v60, v[4:5], v[2:3] offset1:13
	ds_write_b64 v60, v[0:1] offset:208
	s_and_saveexec_b64 s[8:9], s[0:1]
	s_cbranch_execz .LBB0_18
; %bb.17:
	v_add_u16_e32 v0, 0x75, v132
	v_mul_lo_u16_sdwa v1, v0, s7 dst_sel:DWORD dst_unused:UNUSED_PAD src0_sel:BYTE_0 src1_sel:DWORD
	v_lshrrev_b16_e32 v5, 10, v1
	v_mul_lo_u16_e32 v1, 13, v5
	v_sub_u16_e32 v6, v0, v1
	v_lshlrev_b32_sdwa v0, v30, v6 dst_sel:DWORD dst_unused:UNUSED_PAD src0_sel:DWORD src1_sel:BYTE_0
	global_load_dwordx4 v[0:3], v0, s[4:5]
	v_mov_b32_e32 v4, v23
	v_mad_u32_u24 v5, v5, s12, 0
	v_lshlrev_b32_sdwa v6, v31, v6 dst_sel:DWORD dst_unused:UNUSED_PAD src0_sel:DWORD src1_sel:BYTE_0
	v_add3_u32 v10, v5, v6, v62
	s_waitcnt vmcnt(0)
	v_pk_mul_f32 v[4:5], v[4:5], v[0:1] op_sel_hi:[0,1]
	v_pk_mul_f32 v[6:7], v[20:21], v[2:3] op_sel:[1,0]
	v_pk_fma_f32 v[8:9], v[22:23], v[0:1], v[4:5] op_sel:[0,0,1] op_sel_hi:[1,1,0] neg_lo:[0,0,1] neg_hi:[0,0,1]
	v_pk_fma_f32 v[0:1], v[22:23], v[0:1], v[4:5] op_sel:[0,0,1] op_sel_hi:[0,1,0]
	v_pk_fma_f32 v[4:5], v[20:21], v[2:3], v[6:7] op_sel:[0,0,1] op_sel_hi:[1,1,0] neg_lo:[0,0,1] neg_hi:[0,0,1]
	v_pk_fma_f32 v[2:3], v[20:21], v[2:3], v[6:7] op_sel:[0,0,1] op_sel_hi:[0,1,0]
	v_mov_b32_e32 v9, v1
	v_mov_b32_e32 v5, v3
	v_pk_add_f32 v[0:1], v[24:25], v[8:9]
	v_pk_add_f32 v[2:3], v[8:9], v[4:5]
	v_pk_add_f32 v[6:7], v[8:9], v[4:5] neg_lo:[0,1] neg_hi:[0,1]
	v_pk_add_f32 v[0:1], v[0:1], v[4:5]
	v_pk_fma_f32 v[2:3], -0.5, v[2:3], v[24:25] op_sel_hi:[0,1,1]
	v_pk_mul_f32 v[4:5], v[6:7], s[6:7] op_sel_hi:[1,0]
	s_nop 0
	v_pk_add_f32 v[6:7], v[2:3], v[4:5] op_sel:[0,1] op_sel_hi:[1,0]
	v_pk_add_f32 v[2:3], v[2:3], v[4:5] op_sel:[0,1] op_sel_hi:[1,0] neg_lo:[0,1] neg_hi:[0,1]
	v_mov_b32_e32 v4, v6
	v_mov_b32_e32 v5, v3
	;; [unrolled: 1-line block ×3, first 2 shown]
	ds_write2_b64 v10, v[0:1], v[4:5] offset1:13
	ds_write_b64 v10, v[2:3] offset:208
.LBB0_18:
	s_or_b64 exec, exec, s[8:9]
	s_waitcnt lgkmcnt(0)
	s_barrier
	s_and_saveexec_b64 s[0:1], vcc
	s_cbranch_execz .LBB0_20
; %bb.19:
	v_mul_lo_u32 v0, s3, v18
	v_mul_lo_u32 v1, s2, v19
	v_mad_u64_u32 v[2:3], s[0:1], s2, v18, 0
	v_add3_u32 v3, v3, v1, v0
	v_mul_u32_u24_e32 v0, 10, v132
	v_lshlrev_b32_e32 v8, 3, v0
	v_add_u32_e32 v4, 0x800, v28
	ds_read2_b64 v[24:27], v4 offset0:95 offset1:134
	ds_read2_b64 v[30:33], v28 offset0:39 offset1:78
	ds_read_b64 v[0:1], v29
	ds_read2_b64 v[34:37], v4 offset0:17 offset1:56
	ds_read2_b64 v[38:41], v28 offset0:117 offset1:156
	;; [unrolled: 1-line block ×3, first 2 shown]
	global_load_dwordx4 v[46:49], v8, s[4:5] offset:224
	global_load_dwordx4 v[50:53], v8, s[4:5] offset:208
	;; [unrolled: 1-line block ×5, first 2 shown]
	v_mad_u64_u32 v[4:5], s[0:1], s16, v133, 0
	v_mov_b32_e32 v6, v5
	v_mad_u64_u32 v[6:7], s[0:1], s17, v133, v[6:7]
	v_lshl_add_u64 v[2:3], v[2:3], 3, s[10:11]
	v_mov_b32_e32 v5, v6
	v_lshl_add_u64 v[12:13], v[16:17], 3, v[2:3]
	v_lshl_add_u64 v[18:19], v[4:5], 3, v[12:13]
	v_add_u32_e32 v5, 39, v133
	v_mad_u64_u32 v[2:3], s[0:1], s16, v5, 0
	v_mov_b32_e32 v4, v3
	v_mad_u64_u32 v[4:5], s[0:1], s17, v5, v[4:5]
	v_mov_b32_e32 v3, v4
	v_add_u32_e32 v5, 0x4e, v133
	v_lshl_add_u64 v[66:67], v[2:3], 3, v[12:13]
	v_mad_u64_u32 v[2:3], s[0:1], s16, v5, 0
	v_mov_b32_e32 v4, v3
	v_mad_u64_u32 v[4:5], s[0:1], s17, v5, v[4:5]
	v_mov_b32_e32 v3, v4
	v_add_u32_e32 v5, 0x75, v133
	v_lshl_add_u64 v[68:69], v[2:3], 3, v[12:13]
	;; [unrolled: 6-line block ×4, first 2 shown]
	v_mad_u64_u32 v[2:3], s[0:1], s16, v5, 0
	v_mov_b32_e32 v4, v3
	v_mad_u64_u32 v[4:5], s[0:1], s17, v5, v[4:5]
	v_add_u32_e32 v7, 0xea, v133
	v_mov_b32_e32 v3, v4
	v_mad_u64_u32 v[4:5], s[0:1], s16, v7, 0
	v_mov_b32_e32 v6, v5
	v_mad_u64_u32 v[6:7], s[0:1], s17, v7, v[6:7]
	v_add_u32_e32 v9, 0x111, v133
	v_mov_b32_e32 v5, v6
	;; [unrolled: 5-line block ×5, first 2 shown]
	v_mad_u64_u32 v[20:21], s[0:1], s16, v23, 0
	v_mov_b32_e32 v22, v21
	v_mad_u64_u32 v[22:23], s[0:1], s17, v23, v[22:23]
	v_mov_b32_e32 v21, v22
	v_lshl_add_u64 v[2:3], v[2:3], 3, v[12:13]
	v_lshl_add_u64 v[4:5], v[4:5], 3, v[12:13]
	;; [unrolled: 1-line block ×6, first 2 shown]
	s_waitcnt vmcnt(3) lgkmcnt(4)
	v_pk_mul_f32 v[20:21], v[50:51], v[30:31] op_sel:[0,1]
	s_waitcnt lgkmcnt(1)
	v_pk_mul_f32 v[28:29], v[46:47], v[38:39] op_sel:[0,1]
	v_pk_fma_f32 v[70:71], v[50:51], v[30:31], v[20:21] op_sel:[0,0,1] op_sel_hi:[1,1,0] neg_lo:[0,0,1] neg_hi:[0,0,1]
	v_pk_fma_f32 v[20:21], v[50:51], v[30:31], v[20:21] op_sel:[0,0,1] op_sel_hi:[1,0,0]
	s_mov_b32 s16, 0xbf0a6770
	v_mov_b32_e32 v71, v21
	s_waitcnt vmcnt(2)
	v_pk_mul_f32 v[20:21], v[56:57], v[26:27] op_sel:[0,1]
	s_mov_b32 s6, 0x3f575c64
	v_pk_fma_f32 v[50:51], v[56:57], v[26:27], v[20:21] op_sel:[0,0,1] op_sel_hi:[1,1,0] neg_lo:[0,0,1] neg_hi:[0,0,1]
	v_pk_fma_f32 v[20:21], v[56:57], v[26:27], v[20:21] op_sel:[0,0,1] op_sel_hi:[1,0,0]
	v_pk_mul_f32 v[26:27], v[52:53], v[32:33] op_sel:[0,1]
	v_mov_b32_e32 v51, v21
	v_pk_fma_f32 v[56:57], v[52:53], v[32:33], v[26:27] op_sel:[0,0,1] op_sel_hi:[1,1,0] neg_lo:[0,0,1] neg_hi:[0,0,1]
	v_pk_fma_f32 v[26:27], v[52:53], v[32:33], v[26:27] op_sel:[0,0,1] op_sel_hi:[1,0,0]
	v_pk_mul_f32 v[32:33], v[48:49], v[40:41] op_sel:[0,1]
	v_mov_b32_e32 v57, v27
	v_pk_mul_f32 v[26:27], v[54:55], v[24:25] op_sel:[0,1]
	v_pk_add_f32 v[20:21], v[50:51], v[70:71]
	v_pk_fma_f32 v[52:53], v[54:55], v[24:25], v[26:27] op_sel:[0,0,1] op_sel_hi:[1,1,0] neg_lo:[0,0,1] neg_hi:[0,0,1]
	v_pk_fma_f32 v[24:25], v[54:55], v[24:25], v[26:27] op_sel:[0,0,1] op_sel_hi:[1,0,0]
	v_pk_fma_f32 v[54:55], v[46:47], v[38:39], v[28:29] op_sel:[0,0,1] op_sel_hi:[1,1,0] neg_lo:[0,0,1] neg_hi:[0,0,1]
	v_pk_fma_f32 v[28:29], v[46:47], v[38:39], v[28:29] op_sel:[0,0,1] op_sel_hi:[1,0,0]
	v_pk_add_f32 v[22:23], v[70:71], v[50:51] neg_lo:[0,1] neg_hi:[0,1]
	v_mov_b32_e32 v55, v29
	s_waitcnt vmcnt(1)
	v_pk_mul_f32 v[28:29], v[60:61], v[36:37] op_sel:[0,1]
	v_mov_b32_e32 v53, v25
	v_pk_fma_f32 v[38:39], v[60:61], v[36:37], v[28:29] op_sel:[0,0,1] op_sel_hi:[1,1,0] neg_lo:[0,0,1] neg_hi:[0,0,1]
	v_pk_fma_f32 v[28:29], v[60:61], v[36:37], v[28:29] op_sel:[0,0,1] op_sel_hi:[1,0,0]
	v_pk_fma_f32 v[36:37], v[48:49], v[40:41], v[32:33] op_sel:[0,0,1] op_sel_hi:[1,1,0] neg_lo:[0,0,1] neg_hi:[0,0,1]
	v_pk_fma_f32 v[32:33], v[48:49], v[40:41], v[32:33] op_sel:[0,0,1] op_sel_hi:[1,0,0]
	s_waitcnt vmcnt(0) lgkmcnt(0)
	v_pk_mul_f32 v[46:47], v[62:63], v[42:43] op_sel:[0,1]
	v_mov_b32_e32 v37, v33
	v_pk_mul_f32 v[32:33], v[58:59], v[34:35] op_sel:[0,1]
	v_pk_add_f32 v[70:71], v[70:71], v[0:1]
	v_pk_add_f32 v[24:25], v[52:53], v[56:57]
	v_pk_add_f32 v[26:27], v[56:57], v[52:53] neg_lo:[0,1] neg_hi:[0,1]
	v_mov_b32_e32 v39, v29
	v_pk_fma_f32 v[40:41], v[58:59], v[34:35], v[32:33] op_sel:[0,0,1] op_sel_hi:[1,1,0] neg_lo:[0,0,1] neg_hi:[0,0,1]
	v_pk_fma_f32 v[32:33], v[58:59], v[34:35], v[32:33] op_sel:[0,0,1] op_sel_hi:[1,0,0]
	v_pk_fma_f32 v[48:49], v[62:63], v[42:43], v[46:47] op_sel:[0,0,1] op_sel_hi:[1,1,0] neg_lo:[0,0,1] neg_hi:[0,0,1]
	v_pk_fma_f32 v[42:43], v[62:63], v[42:43], v[46:47] op_sel:[0,0,1] op_sel_hi:[1,0,0]
	v_pk_add_f32 v[56:57], v[70:71], v[56:57]
	v_pk_add_f32 v[28:29], v[38:39], v[54:55]
	v_pk_add_f32 v[30:31], v[54:55], v[38:39] neg_lo:[0,1] neg_hi:[0,1]
	v_mov_b32_e32 v41, v33
	v_mov_b32_e32 v49, v43
	v_pk_mul_f32 v[42:43], v[64:65], v[44:45] op_sel:[0,1]
	v_pk_add_f32 v[54:55], v[56:57], v[54:55]
	v_pk_add_f32 v[32:33], v[40:41], v[36:37]
	v_pk_add_f32 v[34:35], v[36:37], v[40:41] neg_lo:[0,1] neg_hi:[0,1]
	v_pk_fma_f32 v[46:47], v[64:65], v[44:45], v[42:43] op_sel:[0,0,1] op_sel_hi:[1,1,0] neg_lo:[0,0,1] neg_hi:[0,0,1]
	v_pk_fma_f32 v[42:43], v[64:65], v[44:45], v[42:43] op_sel:[0,0,1] op_sel_hi:[1,0,0]
	v_pk_add_f32 v[36:37], v[54:55], v[36:37]
	v_mov_b32_e32 v47, v43
	v_pk_mul_f32 v[58:59], v[22:23], s[16:17] op_sel:[1,0] op_sel_hi:[0,0]
	s_mov_b32 s18, 0xbf68dda4
	v_pk_add_f32 v[36:37], v[36:37], v[48:49]
	s_mov_b32 s2, 0x3ed4b147
	v_pk_mul_f32 v[60:61], v[26:27], s[18:19] op_sel:[1,0] op_sel_hi:[0,0]
	v_pk_fma_f32 v[74:75], v[20:21], s[6:7], v[58:59] op_sel_hi:[1,0,1]
	v_pk_fma_f32 v[58:59], v[20:21], s[6:7], v[58:59] op_sel_hi:[1,0,1] neg_lo:[0,0,1] neg_hi:[0,0,1]
	v_pk_add_f32 v[36:37], v[46:47], v[36:37]
	s_mov_b32 s4, 0xbf7d64f0
	v_mov_b32_e32 v76, v74
	v_mov_b32_e32 v77, v59
	v_pk_fma_f32 v[78:79], v[24:25], s[2:3], v[60:61] op_sel_hi:[1,0,1]
	v_pk_fma_f32 v[60:61], v[24:25], s[2:3], v[60:61] op_sel_hi:[1,0,1] neg_lo:[0,0,1] neg_hi:[0,0,1]
	v_pk_add_f32 v[36:37], v[40:41], v[36:37]
	s_mov_b32 s0, 0xbe11bafb
	v_pk_mul_f32 v[62:63], v[30:31], s[4:5] op_sel:[1,0] op_sel_hi:[0,0]
	v_pk_add_f32 v[76:77], v[76:77], v[0:1]
	v_mov_b32_e32 v80, v78
	v_mov_b32_e32 v81, v61
	v_pk_add_f32 v[36:37], v[38:39], v[36:37]
	s_mov_b32 s10, 0xbf4178ce
	v_pk_add_f32 v[76:77], v[76:77], v[80:81]
	v_pk_fma_f32 v[80:81], v[28:29], s[0:1], v[62:63] op_sel_hi:[1,0,1]
	v_pk_fma_f32 v[62:63], v[28:29], s[0:1], v[62:63] op_sel_hi:[1,0,1] neg_lo:[0,0,1] neg_hi:[0,0,1]
	v_pk_add_f32 v[36:37], v[52:53], v[36:37]
	s_mov_b32 s8, 0xbf27a4f4
	v_pk_mul_f32 v[64:65], v[34:35], s[10:11] op_sel:[1,0] op_sel_hi:[0,0]
	v_mov_b32_e32 v82, v80
	v_mov_b32_e32 v83, v63
	v_pk_add_f32 v[36:37], v[50:51], v[36:37]
	v_mov_b32_e32 v59, v75
	v_pk_add_f32 v[44:45], v[48:49], v[46:47] neg_lo:[0,1] neg_hi:[0,1]
	s_mov_b32 s14, 0xbe903f40
	v_pk_add_f32 v[76:77], v[76:77], v[82:83]
	v_pk_fma_f32 v[82:83], v[32:33], s[8:9], v[64:65] op_sel_hi:[1,0,1]
	v_pk_fma_f32 v[64:65], v[32:33], s[8:9], v[64:65] op_sel_hi:[1,0,1] neg_lo:[0,0,1] neg_hi:[0,0,1]
	global_store_dwordx2 v[18:19], v[36:37], off
	v_pk_add_f32 v[18:19], v[58:59], v[0:1]
	v_mov_b32_e32 v61, v79
	v_pk_add_f32 v[42:43], v[46:47], v[48:49]
	s_mov_b32 s12, 0xbf75a155
	v_pk_mul_f32 v[72:73], v[44:45], s[14:15] op_sel:[1,0] op_sel_hi:[0,0]
	v_mov_b32_e32 v84, v82
	v_mov_b32_e32 v85, v65
	v_pk_add_f32 v[18:19], v[18:19], v[60:61]
	v_mov_b32_e32 v63, v81
	v_pk_add_f32 v[76:77], v[76:77], v[84:85]
	v_pk_fma_f32 v[84:85], v[42:43], s[12:13], v[72:73] op_sel_hi:[1,0,1]
	v_pk_fma_f32 v[72:73], v[42:43], s[12:13], v[72:73] op_sel_hi:[1,0,1] neg_lo:[0,0,1] neg_hi:[0,0,1]
	v_pk_add_f32 v[18:19], v[18:19], v[62:63]
	v_mov_b32_e32 v65, v83
	v_mov_b32_e32 v87, v73
	v_pk_add_f32 v[18:19], v[18:19], v[64:65]
	v_mov_b32_e32 v73, v85
	v_pk_add_f32 v[18:19], v[18:19], v[72:73]
	global_store_dwordx2 v[66:67], v[18:19], off
	v_pk_mul_f32 v[18:19], v[22:23], s[18:19] op_sel:[1,0] op_sel_hi:[0,0]
	v_pk_mul_f32 v[36:37], v[26:27], s[10:11] op_sel:[1,0] op_sel_hi:[0,0]
	v_pk_fma_f32 v[48:49], v[20:21], s[2:3], v[18:19] op_sel_hi:[1,0,1]
	v_pk_fma_f32 v[18:19], v[20:21], s[2:3], v[18:19] op_sel_hi:[1,0,1] neg_lo:[0,0,1] neg_hi:[0,0,1]
	s_mov_b32 s20, 0x3e903f40
	v_mov_b32_e32 v50, v48
	v_mov_b32_e32 v51, v19
	v_pk_fma_f32 v[52:53], v[24:25], s[8:9], v[36:37] op_sel_hi:[1,0,1]
	v_pk_fma_f32 v[36:37], v[24:25], s[8:9], v[36:37] op_sel_hi:[1,0,1] neg_lo:[0,0,1] neg_hi:[0,0,1]
	v_pk_mul_f32 v[38:39], v[30:31], s[20:21] op_sel:[1,0] op_sel_hi:[0,0]
	v_pk_add_f32 v[50:51], v[50:51], v[0:1]
	v_mov_b32_e32 v54, v52
	v_mov_b32_e32 v55, v37
	s_mov_b32 s22, 0x3f7d64f0
	v_pk_add_f32 v[50:51], v[50:51], v[54:55]
	v_pk_fma_f32 v[54:55], v[28:29], s[12:13], v[38:39] op_sel_hi:[1,0,1]
	v_pk_fma_f32 v[38:39], v[28:29], s[12:13], v[38:39] op_sel_hi:[1,0,1] neg_lo:[0,0,1] neg_hi:[0,0,1]
	v_pk_mul_f32 v[40:41], v[34:35], s[22:23] op_sel:[1,0] op_sel_hi:[0,0]
	v_mov_b32_e32 v56, v54
	v_mov_b32_e32 v57, v39
	;; [unrolled: 1-line block ×3, first 2 shown]
	s_mov_b32 s18, 0x3f0a6770
	v_pk_add_f32 v[50:51], v[50:51], v[56:57]
	v_pk_fma_f32 v[56:57], v[32:33], s[0:1], v[40:41] op_sel_hi:[1,0,1]
	v_pk_fma_f32 v[40:41], v[32:33], s[0:1], v[40:41] op_sel_hi:[1,0,1] neg_lo:[0,0,1] neg_hi:[0,0,1]
	v_pk_add_f32 v[18:19], v[18:19], v[0:1]
	v_mov_b32_e32 v37, v53
	v_pk_mul_f32 v[46:47], v[44:45], s[18:19] op_sel:[1,0] op_sel_hi:[0,0]
	v_mov_b32_e32 v58, v56
	v_mov_b32_e32 v59, v41
	v_pk_add_f32 v[18:19], v[18:19], v[36:37]
	v_mov_b32_e32 v39, v55
	v_pk_add_f32 v[50:51], v[50:51], v[58:59]
	v_pk_fma_f32 v[58:59], v[42:43], s[6:7], v[46:47] op_sel_hi:[1,0,1]
	v_pk_fma_f32 v[46:47], v[42:43], s[6:7], v[46:47] op_sel_hi:[1,0,1] neg_lo:[0,0,1] neg_hi:[0,0,1]
	v_pk_add_f32 v[18:19], v[18:19], v[38:39]
	v_mov_b32_e32 v41, v57
	v_mov_b32_e32 v61, v47
	v_pk_add_f32 v[18:19], v[18:19], v[40:41]
	v_mov_b32_e32 v47, v59
	v_pk_add_f32 v[18:19], v[18:19], v[46:47]
	global_store_dwordx2 v[68:69], v[18:19], off
	v_pk_mul_f32 v[18:19], v[22:23], s[4:5] op_sel:[1,0] op_sel_hi:[0,0]
	v_pk_mul_f32 v[36:37], v[26:27], s[20:21] op_sel:[1,0] op_sel_hi:[0,0]
	v_pk_fma_f32 v[48:49], v[20:21], s[0:1], v[18:19] op_sel_hi:[1,0,1]
	v_pk_fma_f32 v[18:19], v[20:21], s[0:1], v[18:19] op_sel_hi:[1,0,1] neg_lo:[0,0,1] neg_hi:[0,0,1]
	s_mov_b32 s20, 0x3f68dda4
	v_mov_b32_e32 v52, v48
	v_mov_b32_e32 v53, v19
	v_pk_fma_f32 v[54:55], v[24:25], s[12:13], v[36:37] op_sel_hi:[1,0,1]
	v_pk_fma_f32 v[36:37], v[24:25], s[12:13], v[36:37] op_sel_hi:[1,0,1] neg_lo:[0,0,1] neg_hi:[0,0,1]
	v_pk_mul_f32 v[38:39], v[30:31], s[20:21] op_sel:[1,0] op_sel_hi:[0,0]
	v_pk_add_f32 v[52:53], v[52:53], v[0:1]
	v_mov_b32_e32 v56, v54
	v_mov_b32_e32 v57, v37
	v_pk_add_f32 v[52:53], v[52:53], v[56:57]
	v_pk_fma_f32 v[56:57], v[28:29], s[2:3], v[38:39] op_sel_hi:[1,0,1]
	v_pk_fma_f32 v[38:39], v[28:29], s[2:3], v[38:39] op_sel_hi:[1,0,1] neg_lo:[0,0,1] neg_hi:[0,0,1]
	v_mov_b32_e32 v60, v58
	v_pk_mul_f32 v[40:41], v[34:35], s[16:17] op_sel:[1,0] op_sel_hi:[0,0]
	v_mov_b32_e32 v58, v56
	v_mov_b32_e32 v59, v39
	;; [unrolled: 1-line block ×3, first 2 shown]
	v_pk_add_f32 v[52:53], v[52:53], v[58:59]
	v_pk_fma_f32 v[58:59], v[32:33], s[6:7], v[40:41] op_sel_hi:[1,0,1]
	v_pk_fma_f32 v[40:41], v[32:33], s[6:7], v[40:41] op_sel_hi:[1,0,1] neg_lo:[0,0,1] neg_hi:[0,0,1]
	v_pk_add_f32 v[18:19], v[18:19], v[0:1]
	v_mov_b32_e32 v37, v55
	v_pk_add_f32 v[50:51], v[50:51], v[60:61]
	v_pk_mul_f32 v[46:47], v[44:45], s[10:11] op_sel:[1,0] op_sel_hi:[0,0]
	v_mov_b32_e32 v60, v58
	v_mov_b32_e32 v61, v41
	v_pk_add_f32 v[18:19], v[18:19], v[36:37]
	v_mov_b32_e32 v39, v57
	v_pk_add_f32 v[52:53], v[52:53], v[60:61]
	v_pk_fma_f32 v[60:61], v[42:43], s[8:9], v[46:47] op_sel_hi:[1,0,1]
	v_pk_fma_f32 v[46:47], v[42:43], s[8:9], v[46:47] op_sel_hi:[1,0,1] neg_lo:[0,0,1] neg_hi:[0,0,1]
	v_pk_add_f32 v[18:19], v[18:19], v[38:39]
	v_mov_b32_e32 v41, v59
	v_mov_b32_e32 v63, v47
	v_pk_add_f32 v[18:19], v[18:19], v[40:41]
	v_mov_b32_e32 v47, v61
	v_pk_add_f32 v[18:19], v[18:19], v[46:47]
	global_store_dwordx2 v[16:17], v[18:19], off
	v_pk_mul_f32 v[16:17], v[22:23], s[10:11] op_sel:[1,0] op_sel_hi:[0,0]
	v_pk_mul_f32 v[18:19], v[26:27], s[22:23] op_sel:[1,0] op_sel_hi:[0,0]
	v_pk_fma_f32 v[46:47], v[20:21], s[8:9], v[16:17] op_sel_hi:[1,0,1]
	v_pk_fma_f32 v[16:17], v[20:21], s[8:9], v[16:17] op_sel_hi:[1,0,1] neg_lo:[0,0,1] neg_hi:[0,0,1]
	v_mov_b32_e32 v48, v46
	v_mov_b32_e32 v49, v17
	v_pk_fma_f32 v[54:55], v[24:25], s[0:1], v[18:19] op_sel_hi:[1,0,1]
	v_pk_fma_f32 v[18:19], v[24:25], s[0:1], v[18:19] op_sel_hi:[1,0,1] neg_lo:[0,0,1] neg_hi:[0,0,1]
	v_pk_mul_f32 v[36:37], v[30:31], s[16:17] op_sel:[1,0] op_sel_hi:[0,0]
	v_pk_add_f32 v[48:49], v[48:49], v[0:1]
	v_mov_b32_e32 v56, v54
	v_mov_b32_e32 v57, v19
	v_pk_add_f32 v[48:49], v[48:49], v[56:57]
	v_pk_fma_f32 v[56:57], v[28:29], s[6:7], v[36:37] op_sel_hi:[1,0,1]
	v_pk_fma_f32 v[36:37], v[28:29], s[6:7], v[36:37] op_sel_hi:[1,0,1] neg_lo:[0,0,1] neg_hi:[0,0,1]
	v_pk_mul_f32 v[38:39], v[34:35], s[14:15] op_sel:[1,0] op_sel_hi:[0,0]
	v_mov_b32_e32 v58, v56
	v_mov_b32_e32 v59, v37
	;; [unrolled: 1-line block ×3, first 2 shown]
	v_pk_add_f32 v[48:49], v[48:49], v[58:59]
	v_pk_fma_f32 v[58:59], v[32:33], s[12:13], v[38:39] op_sel_hi:[1,0,1]
	v_pk_fma_f32 v[38:39], v[32:33], s[12:13], v[38:39] op_sel_hi:[1,0,1] neg_lo:[0,0,1] neg_hi:[0,0,1]
	v_pk_add_f32 v[16:17], v[16:17], v[0:1]
	v_mov_b32_e32 v19, v55
	v_mov_b32_e32 v62, v60
	v_pk_mul_f32 v[40:41], v[44:45], s[20:21] op_sel:[1,0] op_sel_hi:[0,0]
	v_mov_b32_e32 v60, v58
	v_mov_b32_e32 v61, v39
	v_pk_add_f32 v[16:17], v[16:17], v[18:19]
	v_mov_b32_e32 v37, v57
	v_pk_add_f32 v[48:49], v[48:49], v[60:61]
	v_pk_fma_f32 v[60:61], v[42:43], s[2:3], v[40:41] op_sel_hi:[1,0,1]
	v_pk_fma_f32 v[40:41], v[42:43], s[2:3], v[40:41] op_sel_hi:[1,0,1] neg_lo:[0,0,1] neg_hi:[0,0,1]
	v_pk_add_f32 v[16:17], v[16:17], v[36:37]
	v_mov_b32_e32 v39, v59
	v_pk_add_f32 v[52:53], v[52:53], v[62:63]
	v_mov_b32_e32 v63, v41
	;; [unrolled: 2-line block ×3, first 2 shown]
	v_pk_add_f32 v[16:17], v[16:17], v[40:41]
	global_store_dwordx2 v[14:15], v[16:17], off
	v_pk_mul_f32 v[14:15], v[22:23], s[14:15] op_sel:[1,0] op_sel_hi:[0,0]
	v_pk_fma_f32 v[16:17], v[20:21], s[12:13], v[14:15] op_sel_hi:[1,0,1]
	v_pk_fma_f32 v[14:15], v[20:21], s[12:13], v[14:15] op_sel_hi:[1,0,1] neg_lo:[0,0,1] neg_hi:[0,0,1]
	v_pk_mul_f32 v[20:21], v[26:27], s[18:19] op_sel:[1,0] op_sel_hi:[0,0]
	v_mov_b32_e32 v18, v16
	v_mov_b32_e32 v19, v15
	v_pk_fma_f32 v[22:23], v[24:25], s[6:7], v[20:21] op_sel_hi:[1,0,1]
	v_pk_fma_f32 v[20:21], v[24:25], s[6:7], v[20:21] op_sel_hi:[1,0,1] neg_lo:[0,0,1] neg_hi:[0,0,1]
	v_pk_add_f32 v[18:19], v[18:19], v[0:1]
	v_mov_b32_e32 v24, v22
	v_mov_b32_e32 v25, v21
	v_pk_add_f32 v[18:19], v[18:19], v[24:25]
	v_pk_mul_f32 v[24:25], v[30:31], s[10:11] op_sel:[1,0] op_sel_hi:[0,0]
	v_pk_fma_f32 v[26:27], v[28:29], s[8:9], v[24:25] op_sel_hi:[1,0,1]
	v_pk_fma_f32 v[24:25], v[28:29], s[8:9], v[24:25] op_sel_hi:[1,0,1] neg_lo:[0,0,1] neg_hi:[0,0,1]
	v_mov_b32_e32 v28, v26
	v_mov_b32_e32 v29, v25
	v_pk_add_f32 v[18:19], v[18:19], v[28:29]
	v_pk_mul_f32 v[28:29], v[34:35], s[20:21] op_sel:[1,0] op_sel_hi:[0,0]
	v_pk_fma_f32 v[30:31], v[32:33], s[2:3], v[28:29] op_sel_hi:[1,0,1]
	v_pk_fma_f32 v[28:29], v[32:33], s[2:3], v[28:29] op_sel_hi:[1,0,1] neg_lo:[0,0,1] neg_hi:[0,0,1]
	v_mov_b32_e32 v15, v17
	v_mov_b32_e32 v32, v30
	;; [unrolled: 1-line block ×3, first 2 shown]
	v_pk_add_f32 v[0:1], v[14:15], v[0:1]
	v_mov_b32_e32 v21, v23
	v_pk_add_f32 v[18:19], v[18:19], v[32:33]
	v_pk_mul_f32 v[32:33], v[44:45], s[4:5] op_sel:[1,0] op_sel_hi:[0,0]
	v_pk_add_f32 v[0:1], v[0:1], v[20:21]
	v_mov_b32_e32 v25, v27
	v_pk_fma_f32 v[34:35], v[42:43], s[0:1], v[32:33] op_sel_hi:[1,0,1]
	v_pk_fma_f32 v[32:33], v[42:43], s[0:1], v[32:33] op_sel_hi:[1,0,1] neg_lo:[0,0,1] neg_hi:[0,0,1]
	v_pk_add_f32 v[0:1], v[0:1], v[24:25]
	v_mov_b32_e32 v29, v31
	v_mov_b32_e32 v37, v33
	v_pk_add_f32 v[0:1], v[0:1], v[28:29]
	v_mov_b32_e32 v33, v35
	v_mov_b32_e32 v86, v84
	;; [unrolled: 1-line block ×4, first 2 shown]
	v_pk_add_f32 v[0:1], v[0:1], v[32:33]
	v_pk_add_f32 v[76:77], v[76:77], v[86:87]
	;; [unrolled: 1-line block ×4, first 2 shown]
	global_store_dwordx2 v[2:3], v[0:1], off
	global_store_dwordx2 v[4:5], v[18:19], off
	;; [unrolled: 1-line block ×6, first 2 shown]
.LBB0_20:
	s_endpgm
	.section	.rodata,"a",@progbits
	.p2align	6, 0x0
	.amdhsa_kernel fft_rtc_fwd_len429_factors_13_3_11_wgs_117_tpt_39_sp_op_CI_CI_sbrr_dirReg
		.amdhsa_group_segment_fixed_size 0
		.amdhsa_private_segment_fixed_size 0
		.amdhsa_kernarg_size 104
		.amdhsa_user_sgpr_count 2
		.amdhsa_user_sgpr_dispatch_ptr 0
		.amdhsa_user_sgpr_queue_ptr 0
		.amdhsa_user_sgpr_kernarg_segment_ptr 1
		.amdhsa_user_sgpr_dispatch_id 0
		.amdhsa_user_sgpr_kernarg_preload_length 0
		.amdhsa_user_sgpr_kernarg_preload_offset 0
		.amdhsa_user_sgpr_private_segment_size 0
		.amdhsa_uses_dynamic_stack 0
		.amdhsa_enable_private_segment 0
		.amdhsa_system_sgpr_workgroup_id_x 1
		.amdhsa_system_sgpr_workgroup_id_y 0
		.amdhsa_system_sgpr_workgroup_id_z 0
		.amdhsa_system_sgpr_workgroup_info 0
		.amdhsa_system_vgpr_workitem_id 0
		.amdhsa_next_free_vgpr 140
		.amdhsa_next_free_sgpr 54
		.amdhsa_accum_offset 140
		.amdhsa_reserve_vcc 1
		.amdhsa_float_round_mode_32 0
		.amdhsa_float_round_mode_16_64 0
		.amdhsa_float_denorm_mode_32 3
		.amdhsa_float_denorm_mode_16_64 3
		.amdhsa_dx10_clamp 1
		.amdhsa_ieee_mode 1
		.amdhsa_fp16_overflow 0
		.amdhsa_tg_split 0
		.amdhsa_exception_fp_ieee_invalid_op 0
		.amdhsa_exception_fp_denorm_src 0
		.amdhsa_exception_fp_ieee_div_zero 0
		.amdhsa_exception_fp_ieee_overflow 0
		.amdhsa_exception_fp_ieee_underflow 0
		.amdhsa_exception_fp_ieee_inexact 0
		.amdhsa_exception_int_div_zero 0
	.end_amdhsa_kernel
	.text
.Lfunc_end0:
	.size	fft_rtc_fwd_len429_factors_13_3_11_wgs_117_tpt_39_sp_op_CI_CI_sbrr_dirReg, .Lfunc_end0-fft_rtc_fwd_len429_factors_13_3_11_wgs_117_tpt_39_sp_op_CI_CI_sbrr_dirReg
                                        ; -- End function
	.section	.AMDGPU.csdata,"",@progbits
; Kernel info:
; codeLenInByte = 8512
; NumSgprs: 60
; NumVgprs: 140
; NumAgprs: 0
; TotalNumVgprs: 140
; ScratchSize: 0
; MemoryBound: 0
; FloatMode: 240
; IeeeMode: 1
; LDSByteSize: 0 bytes/workgroup (compile time only)
; SGPRBlocks: 7
; VGPRBlocks: 17
; NumSGPRsForWavesPerEU: 60
; NumVGPRsForWavesPerEU: 140
; AccumOffset: 140
; Occupancy: 3
; WaveLimiterHint : 1
; COMPUTE_PGM_RSRC2:SCRATCH_EN: 0
; COMPUTE_PGM_RSRC2:USER_SGPR: 2
; COMPUTE_PGM_RSRC2:TRAP_HANDLER: 0
; COMPUTE_PGM_RSRC2:TGID_X_EN: 1
; COMPUTE_PGM_RSRC2:TGID_Y_EN: 0
; COMPUTE_PGM_RSRC2:TGID_Z_EN: 0
; COMPUTE_PGM_RSRC2:TIDIG_COMP_CNT: 0
; COMPUTE_PGM_RSRC3_GFX90A:ACCUM_OFFSET: 34
; COMPUTE_PGM_RSRC3_GFX90A:TG_SPLIT: 0
	.text
	.p2alignl 6, 3212836864
	.fill 256, 4, 3212836864
	.type	__hip_cuid_444beadd98f8ec6c,@object ; @__hip_cuid_444beadd98f8ec6c
	.section	.bss,"aw",@nobits
	.globl	__hip_cuid_444beadd98f8ec6c
__hip_cuid_444beadd98f8ec6c:
	.byte	0                               ; 0x0
	.size	__hip_cuid_444beadd98f8ec6c, 1

	.ident	"AMD clang version 19.0.0git (https://github.com/RadeonOpenCompute/llvm-project roc-6.4.0 25133 c7fe45cf4b819c5991fe208aaa96edf142730f1d)"
	.section	".note.GNU-stack","",@progbits
	.addrsig
	.addrsig_sym __hip_cuid_444beadd98f8ec6c
	.amdgpu_metadata
---
amdhsa.kernels:
  - .agpr_count:     0
    .args:
      - .actual_access:  read_only
        .address_space:  global
        .offset:         0
        .size:           8
        .value_kind:     global_buffer
      - .offset:         8
        .size:           8
        .value_kind:     by_value
      - .actual_access:  read_only
        .address_space:  global
        .offset:         16
        .size:           8
        .value_kind:     global_buffer
      - .actual_access:  read_only
        .address_space:  global
        .offset:         24
        .size:           8
        .value_kind:     global_buffer
      - .actual_access:  read_only
        .address_space:  global
        .offset:         32
        .size:           8
        .value_kind:     global_buffer
      - .offset:         40
        .size:           8
        .value_kind:     by_value
      - .actual_access:  read_only
        .address_space:  global
        .offset:         48
        .size:           8
        .value_kind:     global_buffer
      - .actual_access:  read_only
        .address_space:  global
        .offset:         56
        .size:           8
        .value_kind:     global_buffer
      - .offset:         64
        .size:           4
        .value_kind:     by_value
      - .actual_access:  read_only
        .address_space:  global
        .offset:         72
        .size:           8
        .value_kind:     global_buffer
      - .actual_access:  read_only
        .address_space:  global
        .offset:         80
        .size:           8
        .value_kind:     global_buffer
      - .actual_access:  read_only
        .address_space:  global
        .offset:         88
        .size:           8
        .value_kind:     global_buffer
      - .actual_access:  write_only
        .address_space:  global
        .offset:         96
        .size:           8
        .value_kind:     global_buffer
    .group_segment_fixed_size: 0
    .kernarg_segment_align: 8
    .kernarg_segment_size: 104
    .language:       OpenCL C
    .language_version:
      - 2
      - 0
    .max_flat_workgroup_size: 117
    .name:           fft_rtc_fwd_len429_factors_13_3_11_wgs_117_tpt_39_sp_op_CI_CI_sbrr_dirReg
    .private_segment_fixed_size: 0
    .sgpr_count:     60
    .sgpr_spill_count: 0
    .symbol:         fft_rtc_fwd_len429_factors_13_3_11_wgs_117_tpt_39_sp_op_CI_CI_sbrr_dirReg.kd
    .uniform_work_group_size: 1
    .uses_dynamic_stack: false
    .vgpr_count:     140
    .vgpr_spill_count: 0
    .wavefront_size: 64
amdhsa.target:   amdgcn-amd-amdhsa--gfx950
amdhsa.version:
  - 1
  - 2
...

	.end_amdgpu_metadata
